;; amdgpu-corpus repo=ROCm/rocFFT kind=compiled arch=gfx1201 opt=O3
	.text
	.amdgcn_target "amdgcn-amd-amdhsa--gfx1201"
	.amdhsa_code_object_version 6
	.protected	fft_rtc_fwd_len726_factors_11_6_11_wgs_132_tpt_66_dp_op_CI_CI_sbrr_dirReg ; -- Begin function fft_rtc_fwd_len726_factors_11_6_11_wgs_132_tpt_66_dp_op_CI_CI_sbrr_dirReg
	.globl	fft_rtc_fwd_len726_factors_11_6_11_wgs_132_tpt_66_dp_op_CI_CI_sbrr_dirReg
	.p2align	8
	.type	fft_rtc_fwd_len726_factors_11_6_11_wgs_132_tpt_66_dp_op_CI_CI_sbrr_dirReg,@function
fft_rtc_fwd_len726_factors_11_6_11_wgs_132_tpt_66_dp_op_CI_CI_sbrr_dirReg: ; @fft_rtc_fwd_len726_factors_11_6_11_wgs_132_tpt_66_dp_op_CI_CI_sbrr_dirReg
; %bb.0:
	s_clause 0x2
	s_load_b128 s[12:15], s[0:1], 0x18
	s_load_b128 s[8:11], s[0:1], 0x0
	;; [unrolled: 1-line block ×3, first 2 shown]
	v_mul_u32_u24_e32 v1, 0x3e1, v0
	v_mov_b32_e32 v4, 0
	v_mov_b32_e32 v5, 0
	s_wait_kmcnt 0x0
	s_load_b64 s[18:19], s[12:13], 0x0
	s_load_b64 s[16:17], s[14:15], 0x0
	v_lshrrev_b32_e32 v54, 16, v1
	v_mov_b32_e32 v1, 0
	v_cmp_lt_u64_e64 s2, s[10:11], 2
	s_delay_alu instid0(VALU_DEP_3) | instskip(NEXT) | instid1(VALU_DEP_3)
	v_lshl_add_u32 v6, ttmp9, 1, v54
	v_mov_b32_e32 v7, v1
	s_delay_alu instid0(VALU_DEP_3)
	s_and_b32 vcc_lo, exec_lo, s2
	s_cbranch_vccnz .LBB0_8
; %bb.1:
	s_load_b64 s[2:3], s[0:1], 0x10
	v_mov_b32_e32 v4, 0
	v_mov_b32_e32 v5, 0
	s_add_nc_u64 s[20:21], s[14:15], 8
	s_add_nc_u64 s[22:23], s[12:13], 8
	s_mov_b64 s[24:25], 1
	s_delay_alu instid0(VALU_DEP_1)
	v_dual_mov_b32 v85, v5 :: v_dual_mov_b32 v84, v4
	s_wait_kmcnt 0x0
	s_add_nc_u64 s[26:27], s[2:3], 8
	s_mov_b32 s3, 0
.LBB0_2:                                ; =>This Inner Loop Header: Depth=1
	s_load_b64 s[28:29], s[26:27], 0x0
                                        ; implicit-def: $vgpr48_vgpr49
	s_mov_b32 s2, exec_lo
	s_wait_kmcnt 0x0
	v_or_b32_e32 v2, s29, v7
	s_delay_alu instid0(VALU_DEP_1)
	v_cmpx_ne_u64_e32 0, v[1:2]
	s_wait_alu 0xfffe
	s_xor_b32 s30, exec_lo, s2
	s_cbranch_execz .LBB0_4
; %bb.3:                                ;   in Loop: Header=BB0_2 Depth=1
	s_cvt_f32_u32 s2, s28
	s_cvt_f32_u32 s31, s29
	s_sub_nc_u64 s[36:37], 0, s[28:29]
	s_wait_alu 0xfffe
	s_delay_alu instid0(SALU_CYCLE_1) | instskip(SKIP_1) | instid1(SALU_CYCLE_2)
	s_fmamk_f32 s2, s31, 0x4f800000, s2
	s_wait_alu 0xfffe
	v_s_rcp_f32 s2, s2
	s_delay_alu instid0(TRANS32_DEP_1) | instskip(SKIP_1) | instid1(SALU_CYCLE_2)
	s_mul_f32 s2, s2, 0x5f7ffffc
	s_wait_alu 0xfffe
	s_mul_f32 s31, s2, 0x2f800000
	s_wait_alu 0xfffe
	s_delay_alu instid0(SALU_CYCLE_2) | instskip(SKIP_1) | instid1(SALU_CYCLE_2)
	s_trunc_f32 s31, s31
	s_wait_alu 0xfffe
	s_fmamk_f32 s2, s31, 0xcf800000, s2
	s_cvt_u32_f32 s35, s31
	s_wait_alu 0xfffe
	s_delay_alu instid0(SALU_CYCLE_1) | instskip(SKIP_1) | instid1(SALU_CYCLE_2)
	s_cvt_u32_f32 s34, s2
	s_wait_alu 0xfffe
	s_mul_u64 s[38:39], s[36:37], s[34:35]
	s_wait_alu 0xfffe
	s_mul_hi_u32 s41, s34, s39
	s_mul_i32 s40, s34, s39
	s_mul_hi_u32 s2, s34, s38
	s_mul_i32 s33, s35, s38
	s_wait_alu 0xfffe
	s_add_nc_u64 s[40:41], s[2:3], s[40:41]
	s_mul_hi_u32 s31, s35, s38
	s_mul_hi_u32 s42, s35, s39
	s_add_co_u32 s2, s40, s33
	s_wait_alu 0xfffe
	s_add_co_ci_u32 s2, s41, s31
	s_mul_i32 s38, s35, s39
	s_add_co_ci_u32 s39, s42, 0
	s_wait_alu 0xfffe
	s_add_nc_u64 s[38:39], s[2:3], s[38:39]
	s_wait_alu 0xfffe
	v_add_co_u32 v2, s2, s34, s38
	s_delay_alu instid0(VALU_DEP_1) | instskip(SKIP_1) | instid1(VALU_DEP_1)
	s_cmp_lg_u32 s2, 0
	s_add_co_ci_u32 s35, s35, s39
	v_readfirstlane_b32 s34, v2
	s_wait_alu 0xfffe
	s_delay_alu instid0(VALU_DEP_1)
	s_mul_u64 s[36:37], s[36:37], s[34:35]
	s_wait_alu 0xfffe
	s_mul_hi_u32 s39, s34, s37
	s_mul_i32 s38, s34, s37
	s_mul_hi_u32 s2, s34, s36
	s_mul_i32 s33, s35, s36
	s_wait_alu 0xfffe
	s_add_nc_u64 s[38:39], s[2:3], s[38:39]
	s_mul_hi_u32 s31, s35, s36
	s_mul_hi_u32 s34, s35, s37
	s_wait_alu 0xfffe
	s_add_co_u32 s2, s38, s33
	s_add_co_ci_u32 s2, s39, s31
	s_mul_i32 s36, s35, s37
	s_add_co_ci_u32 s37, s34, 0
	s_wait_alu 0xfffe
	s_add_nc_u64 s[36:37], s[2:3], s[36:37]
	s_wait_alu 0xfffe
	v_add_co_u32 v8, s2, v2, s36
	s_delay_alu instid0(VALU_DEP_1) | instskip(SKIP_1) | instid1(VALU_DEP_1)
	s_cmp_lg_u32 s2, 0
	s_add_co_ci_u32 s2, s35, s37
	v_mul_hi_u32 v12, v6, v8
	s_wait_alu 0xfffe
	v_mad_co_u64_u32 v[2:3], null, v6, s2, 0
	v_mad_co_u64_u32 v[8:9], null, v7, v8, 0
	;; [unrolled: 1-line block ×3, first 2 shown]
	s_delay_alu instid0(VALU_DEP_3) | instskip(SKIP_1) | instid1(VALU_DEP_4)
	v_add_co_u32 v2, vcc_lo, v12, v2
	s_wait_alu 0xfffd
	v_add_co_ci_u32_e32 v3, vcc_lo, 0, v3, vcc_lo
	s_delay_alu instid0(VALU_DEP_2) | instskip(SKIP_1) | instid1(VALU_DEP_2)
	v_add_co_u32 v2, vcc_lo, v2, v8
	s_wait_alu 0xfffd
	v_add_co_ci_u32_e32 v2, vcc_lo, v3, v9, vcc_lo
	s_wait_alu 0xfffd
	v_add_co_ci_u32_e32 v3, vcc_lo, 0, v11, vcc_lo
	s_delay_alu instid0(VALU_DEP_2) | instskip(SKIP_1) | instid1(VALU_DEP_2)
	v_add_co_u32 v8, vcc_lo, v2, v10
	s_wait_alu 0xfffd
	v_add_co_ci_u32_e32 v9, vcc_lo, 0, v3, vcc_lo
	s_delay_alu instid0(VALU_DEP_2) | instskip(SKIP_1) | instid1(VALU_DEP_3)
	v_mul_lo_u32 v10, s29, v8
	v_mad_co_u64_u32 v[2:3], null, s28, v8, 0
	v_mul_lo_u32 v11, s28, v9
	s_delay_alu instid0(VALU_DEP_2) | instskip(NEXT) | instid1(VALU_DEP_2)
	v_sub_co_u32 v2, vcc_lo, v6, v2
	v_add3_u32 v3, v3, v11, v10
	s_delay_alu instid0(VALU_DEP_1) | instskip(SKIP_1) | instid1(VALU_DEP_1)
	v_sub_nc_u32_e32 v10, v7, v3
	s_wait_alu 0xfffd
	v_subrev_co_ci_u32_e64 v10, s2, s29, v10, vcc_lo
	v_add_co_u32 v11, s2, v8, 2
	s_wait_alu 0xf1ff
	v_add_co_ci_u32_e64 v12, s2, 0, v9, s2
	v_sub_co_u32 v13, s2, v2, s28
	v_sub_co_ci_u32_e32 v3, vcc_lo, v7, v3, vcc_lo
	s_wait_alu 0xf1ff
	v_subrev_co_ci_u32_e64 v10, s2, 0, v10, s2
	s_delay_alu instid0(VALU_DEP_3) | instskip(NEXT) | instid1(VALU_DEP_3)
	v_cmp_le_u32_e32 vcc_lo, s28, v13
	v_cmp_eq_u32_e64 s2, s29, v3
	s_wait_alu 0xfffd
	v_cndmask_b32_e64 v13, 0, -1, vcc_lo
	v_cmp_le_u32_e32 vcc_lo, s29, v10
	s_wait_alu 0xfffd
	v_cndmask_b32_e64 v14, 0, -1, vcc_lo
	v_cmp_le_u32_e32 vcc_lo, s28, v2
	;; [unrolled: 3-line block ×3, first 2 shown]
	s_wait_alu 0xfffd
	v_cndmask_b32_e64 v15, 0, -1, vcc_lo
	v_cmp_eq_u32_e32 vcc_lo, s29, v10
	s_wait_alu 0xf1ff
	s_delay_alu instid0(VALU_DEP_2)
	v_cndmask_b32_e64 v2, v15, v2, s2
	s_wait_alu 0xfffd
	v_cndmask_b32_e32 v10, v14, v13, vcc_lo
	v_add_co_u32 v13, vcc_lo, v8, 1
	s_wait_alu 0xfffd
	v_add_co_ci_u32_e32 v14, vcc_lo, 0, v9, vcc_lo
	s_delay_alu instid0(VALU_DEP_3) | instskip(SKIP_1) | instid1(VALU_DEP_2)
	v_cmp_ne_u32_e32 vcc_lo, 0, v10
	s_wait_alu 0xfffd
	v_dual_cndmask_b32 v3, v14, v12 :: v_dual_cndmask_b32 v10, v13, v11
	v_cmp_ne_u32_e32 vcc_lo, 0, v2
	s_wait_alu 0xfffd
	s_delay_alu instid0(VALU_DEP_2)
	v_dual_cndmask_b32 v49, v9, v3 :: v_dual_cndmask_b32 v48, v8, v10
.LBB0_4:                                ;   in Loop: Header=BB0_2 Depth=1
	s_wait_alu 0xfffe
	s_and_not1_saveexec_b32 s2, s30
	s_cbranch_execz .LBB0_6
; %bb.5:                                ;   in Loop: Header=BB0_2 Depth=1
	v_cvt_f32_u32_e32 v2, s28
	s_sub_co_i32 s30, 0, s28
	v_mov_b32_e32 v49, v1
	s_delay_alu instid0(VALU_DEP_2) | instskip(NEXT) | instid1(TRANS32_DEP_1)
	v_rcp_iflag_f32_e32 v2, v2
	v_mul_f32_e32 v2, 0x4f7ffffe, v2
	s_delay_alu instid0(VALU_DEP_1) | instskip(SKIP_1) | instid1(VALU_DEP_1)
	v_cvt_u32_f32_e32 v2, v2
	s_wait_alu 0xfffe
	v_mul_lo_u32 v3, s30, v2
	s_delay_alu instid0(VALU_DEP_1) | instskip(NEXT) | instid1(VALU_DEP_1)
	v_mul_hi_u32 v3, v2, v3
	v_add_nc_u32_e32 v2, v2, v3
	s_delay_alu instid0(VALU_DEP_1) | instskip(NEXT) | instid1(VALU_DEP_1)
	v_mul_hi_u32 v2, v6, v2
	v_mul_lo_u32 v3, v2, s28
	v_add_nc_u32_e32 v8, 1, v2
	s_delay_alu instid0(VALU_DEP_2) | instskip(NEXT) | instid1(VALU_DEP_1)
	v_sub_nc_u32_e32 v3, v6, v3
	v_subrev_nc_u32_e32 v9, s28, v3
	v_cmp_le_u32_e32 vcc_lo, s28, v3
	s_wait_alu 0xfffd
	s_delay_alu instid0(VALU_DEP_2) | instskip(NEXT) | instid1(VALU_DEP_1)
	v_dual_cndmask_b32 v3, v3, v9 :: v_dual_cndmask_b32 v2, v2, v8
	v_cmp_le_u32_e32 vcc_lo, s28, v3
	s_delay_alu instid0(VALU_DEP_2) | instskip(SKIP_1) | instid1(VALU_DEP_1)
	v_add_nc_u32_e32 v8, 1, v2
	s_wait_alu 0xfffd
	v_cndmask_b32_e32 v48, v2, v8, vcc_lo
.LBB0_6:                                ;   in Loop: Header=BB0_2 Depth=1
	s_wait_alu 0xfffe
	s_or_b32 exec_lo, exec_lo, s2
	v_mul_lo_u32 v8, v49, s28
	s_delay_alu instid0(VALU_DEP_2)
	v_mul_lo_u32 v9, v48, s29
	s_load_b64 s[30:31], s[22:23], 0x0
	v_mad_co_u64_u32 v[2:3], null, v48, s28, 0
	s_load_b64 s[28:29], s[20:21], 0x0
	s_add_nc_u64 s[24:25], s[24:25], 1
	s_add_nc_u64 s[20:21], s[20:21], 8
	s_wait_alu 0xfffe
	v_cmp_ge_u64_e64 s2, s[24:25], s[10:11]
	s_add_nc_u64 s[22:23], s[22:23], 8
	s_add_nc_u64 s[26:27], s[26:27], 8
	v_add3_u32 v3, v3, v9, v8
	v_sub_co_u32 v2, vcc_lo, v6, v2
	s_wait_alu 0xfffd
	s_delay_alu instid0(VALU_DEP_2) | instskip(SKIP_2) | instid1(VALU_DEP_1)
	v_sub_co_ci_u32_e32 v3, vcc_lo, v7, v3, vcc_lo
	s_and_b32 vcc_lo, exec_lo, s2
	s_wait_kmcnt 0x0
	v_mul_lo_u32 v6, s30, v3
	v_mul_lo_u32 v7, s31, v2
	v_mad_co_u64_u32 v[4:5], null, s30, v2, v[4:5]
	v_mul_lo_u32 v3, s28, v3
	v_mul_lo_u32 v8, s29, v2
	v_mad_co_u64_u32 v[84:85], null, s28, v2, v[84:85]
	s_delay_alu instid0(VALU_DEP_4) | instskip(NEXT) | instid1(VALU_DEP_2)
	v_add3_u32 v5, v7, v5, v6
	v_add3_u32 v85, v8, v85, v3
	s_wait_alu 0xfffe
	s_cbranch_vccnz .LBB0_9
; %bb.7:                                ;   in Loop: Header=BB0_2 Depth=1
	v_dual_mov_b32 v6, v48 :: v_dual_mov_b32 v7, v49
	s_branch .LBB0_2
.LBB0_8:
	v_dual_mov_b32 v85, v5 :: v_dual_mov_b32 v84, v4
	s_delay_alu instid0(VALU_DEP_2)
	v_dual_mov_b32 v49, v7 :: v_dual_mov_b32 v48, v6
.LBB0_9:
	s_load_b64 s[0:1], s[0:1], 0x28
	v_mul_hi_u32 v1, 0x3e0f83f, v0
	s_lshl_b64 s[10:11], s[10:11], 3
                                        ; implicit-def: $sgpr2
                                        ; implicit-def: $vgpr52
                                        ; implicit-def: $vgpr53
	s_wait_kmcnt 0x0
	v_cmp_gt_u64_e32 vcc_lo, s[0:1], v[48:49]
	v_cmp_le_u64_e64 s0, s[0:1], v[48:49]
	s_delay_alu instid0(VALU_DEP_1)
	s_and_saveexec_b32 s1, s0
	s_wait_alu 0xfffe
	s_xor_b32 s0, exec_lo, s1
; %bb.10:
	v_mul_u32_u24_e32 v1, 0x42, v1
	s_mov_b32 s2, 0
                                        ; implicit-def: $vgpr4_vgpr5
	s_delay_alu instid0(VALU_DEP_1) | instskip(NEXT) | instid1(VALU_DEP_1)
	v_sub_nc_u32_e32 v52, v0, v1
                                        ; implicit-def: $vgpr1
                                        ; implicit-def: $vgpr0
	v_add_nc_u32_e32 v53, 0x42, v52
; %bb.11:
	s_wait_alu 0xfffe
	s_or_saveexec_b32 s1, s0
	v_mov_b32_e32 v88, s2
	s_add_nc_u64 s[2:3], s[14:15], s[10:11]
                                        ; implicit-def: $vgpr6_vgpr7
                                        ; implicit-def: $vgpr10_vgpr11
                                        ; implicit-def: $vgpr14_vgpr15
                                        ; implicit-def: $vgpr18_vgpr19
                                        ; implicit-def: $vgpr22_vgpr23
                                        ; implicit-def: $vgpr26_vgpr27
                                        ; implicit-def: $vgpr30_vgpr31
                                        ; implicit-def: $vgpr34_vgpr35
                                        ; implicit-def: $vgpr38_vgpr39
                                        ; implicit-def: $vgpr42_vgpr43
                                        ; implicit-def: $vgpr2_vgpr3
	s_wait_alu 0xfffe
	s_xor_b32 exec_lo, exec_lo, s1
	s_cbranch_execz .LBB0_13
; %bb.12:
	s_add_nc_u64 s[10:11], s[12:13], s[10:11]
	v_mul_u32_u24_e32 v1, 0x42, v1
	s_load_b64 s[10:11], s[10:11], 0x0
	v_lshlrev_b64_e32 v[4:5], 4, v[4:5]
	s_delay_alu instid0(VALU_DEP_2) | instskip(NEXT) | instid1(VALU_DEP_1)
	v_sub_nc_u32_e32 v52, v0, v1
	v_add_nc_u32_e32 v53, 0x42, v52
	v_mad_co_u64_u32 v[0:1], null, s18, v52, 0
	v_add_nc_u32_e32 v17, 0x84, v52
	v_add_nc_u32_e32 v19, 0x108, v52
	s_delay_alu instid0(VALU_DEP_4) | instskip(SKIP_1) | instid1(VALU_DEP_4)
	v_mad_co_u64_u32 v[2:3], null, s18, v53, 0
	v_add_nc_u32_e32 v23, 0x210, v52
	v_mad_co_u64_u32 v[6:7], null, s18, v17, 0
	v_add_nc_u32_e32 v45, 0x294, v52
	s_wait_kmcnt 0x0
	v_mul_lo_u32 v15, s11, v48
	v_mul_lo_u32 v16, s10, v49
	v_mad_co_u64_u32 v[8:9], null, s10, v48, 0
	v_mad_co_u64_u32 v[12:13], null, s19, v52, v[1:2]
	v_add_nc_u32_e32 v18, 0xc6, v52
	v_mad_co_u64_u32 v[13:14], null, s18, v19, 0
	v_mov_b32_e32 v88, v52
	v_add3_u32 v9, v9, v16, v15
	v_mad_co_u64_u32 v[15:16], null, s19, v53, v[3:4]
	v_mov_b32_e32 v1, v12
	v_mad_co_u64_u32 v[10:11], null, s18, v18, 0
	s_delay_alu instid0(VALU_DEP_4) | instskip(SKIP_1) | instid1(VALU_DEP_4)
	v_lshlrev_b64_e32 v[8:9], 4, v[8:9]
	v_add_nc_u32_e32 v12, 0x14a, v52
	v_lshlrev_b64_e32 v[0:1], 4, v[0:1]
	v_dual_mov_b32 v3, v15 :: v_dual_add_nc_u32 v44, 0x252, v52
	s_delay_alu instid0(VALU_DEP_4) | instskip(SKIP_4) | instid1(VALU_DEP_3)
	v_mad_co_u64_u32 v[16:17], null, s19, v17, v[7:8]
	v_add_co_u32 v7, s0, s4, v8
	s_wait_alu 0xf1ff
	v_add_co_ci_u32_e64 v8, s0, s5, v9, s0
	v_lshlrev_b64_e32 v[2:3], 4, v[2:3]
	v_add_co_u32 v21, s0, v7, v4
	s_wait_alu 0xf1ff
	s_delay_alu instid0(VALU_DEP_3) | instskip(SKIP_1) | instid1(VALU_DEP_3)
	v_add_co_ci_u32_e64 v22, s0, v8, v5, s0
	v_mad_co_u64_u32 v[8:9], null, s19, v18, v[11:12]
	v_add_co_u32 v0, s0, v21, v0
	s_wait_alu 0xf1ff
	s_delay_alu instid0(VALU_DEP_3)
	v_add_co_ci_u32_e64 v1, s0, v22, v1, s0
	v_add_co_u32 v4, s0, v21, v2
	v_mov_b32_e32 v7, v16
	v_mad_co_u64_u32 v[15:16], null, s18, v12, 0
	v_mov_b32_e32 v9, v14
	s_wait_alu 0xf1ff
	v_add_co_ci_u32_e64 v5, s0, v22, v3, s0
	v_mov_b32_e32 v11, v8
	s_clause 0x1
	global_load_b128 v[0:3], v[0:1], off
	global_load_b128 v[40:43], v[4:5], off
	v_lshlrev_b64_e32 v[4:5], 4, v[6:7]
	v_mad_co_u64_u32 v[6:7], null, s19, v19, v[9:10]
	v_lshlrev_b64_e32 v[8:9], 4, v[10:11]
	v_mov_b32_e32 v7, v16
	v_add_nc_u32_e32 v17, 0x18c, v52
	v_add_co_u32 v4, s0, v21, v4
	s_wait_alu 0xf1ff
	v_add_co_ci_u32_e64 v5, s0, v22, v5, s0
	v_mov_b32_e32 v14, v6
	v_mad_co_u64_u32 v[6:7], null, s19, v12, v[7:8]
	v_mad_co_u64_u32 v[11:12], null, s18, v17, 0
	v_add_co_u32 v7, s0, v21, v8
	s_wait_alu 0xf1ff
	v_add_co_ci_u32_e64 v8, s0, v22, v9, s0
	s_delay_alu instid0(VALU_DEP_4)
	v_mov_b32_e32 v16, v6
	v_lshlrev_b64_e32 v[9:10], 4, v[13:14]
	s_clause 0x1
	global_load_b128 v[36:39], v[4:5], off
	global_load_b128 v[32:35], v[7:8], off
	v_dual_mov_b32 v6, v12 :: v_dual_add_nc_u32 v19, 0x1ce, v52
	v_lshlrev_b64_e32 v[7:8], 4, v[15:16]
	v_mad_co_u64_u32 v[15:16], null, s18, v23, 0
	v_add_co_u32 v4, s0, v21, v9
	s_wait_alu 0xf1ff
	v_add_co_ci_u32_e64 v5, s0, v22, v10, s0
	s_delay_alu instid0(VALU_DEP_4) | instskip(SKIP_4) | instid1(VALU_DEP_4)
	v_mad_co_u64_u32 v[9:10], null, s19, v17, v[6:7]
	v_mad_co_u64_u32 v[13:14], null, s18, v19, 0
	v_add_co_u32 v6, s0, v21, v7
	s_wait_alu 0xf1ff
	v_add_co_ci_u32_e64 v7, s0, v22, v8, s0
	v_dual_mov_b32 v12, v9 :: v_dual_mov_b32 v9, v16
	s_delay_alu instid0(VALU_DEP_4)
	v_mov_b32_e32 v8, v14
	v_mad_co_u64_u32 v[17:18], null, s18, v44, 0
	s_clause 0x1
	global_load_b128 v[28:31], v[4:5], off
	global_load_b128 v[24:27], v[6:7], off
	v_lshlrev_b64_e32 v[5:6], 4, v[11:12]
	v_mad_co_u64_u32 v[19:20], null, s19, v19, v[8:9]
	v_mad_co_u64_u32 v[8:9], null, s19, v23, v[9:10]
	;; [unrolled: 1-line block ×3, first 2 shown]
	v_mov_b32_e32 v4, v18
	s_delay_alu instid0(VALU_DEP_4) | instskip(NEXT) | instid1(VALU_DEP_4)
	v_mov_b32_e32 v14, v19
	v_mov_b32_e32 v16, v8
	s_delay_alu instid0(VALU_DEP_3)
	v_mad_co_u64_u32 v[7:8], null, s19, v44, v[4:5]
	v_mov_b32_e32 v4, v10
	v_add_co_u32 v5, s0, v21, v5
	v_lshlrev_b64_e32 v[10:11], 4, v[13:14]
	s_wait_alu 0xf1ff
	v_add_co_ci_u32_e64 v6, s0, v22, v6, s0
	v_mov_b32_e32 v18, v7
	v_mad_co_u64_u32 v[12:13], null, s19, v45, v[4:5]
	v_lshlrev_b64_e32 v[13:14], 4, v[15:16]
	v_add_co_u32 v7, s0, v21, v10
	s_delay_alu instid0(VALU_DEP_4)
	v_lshlrev_b64_e32 v[15:16], 4, v[17:18]
	s_wait_alu 0xf1ff
	v_add_co_ci_u32_e64 v8, s0, v22, v11, s0
	v_mov_b32_e32 v10, v12
	v_add_co_u32 v11, s0, v21, v13
	s_wait_alu 0xf1ff
	v_add_co_ci_u32_e64 v12, s0, v22, v14, s0
	s_delay_alu instid0(VALU_DEP_3) | instskip(SKIP_3) | instid1(VALU_DEP_3)
	v_lshlrev_b64_e32 v[9:10], 4, v[9:10]
	v_add_co_u32 v44, s0, v21, v15
	s_wait_alu 0xf1ff
	v_add_co_ci_u32_e64 v45, s0, v22, v16, s0
	v_add_co_u32 v46, s0, v21, v9
	s_wait_alu 0xf1ff
	v_add_co_ci_u32_e64 v47, s0, v22, v10, s0
	s_clause 0x4
	global_load_b128 v[20:23], v[5:6], off
	global_load_b128 v[16:19], v[7:8], off
	global_load_b128 v[12:15], v[11:12], off
	global_load_b128 v[8:11], v[44:45], off
	global_load_b128 v[4:7], v[46:47], off
.LBB0_13:
	s_or_b32 exec_lo, exec_lo, s1
	s_wait_loadcnt 0x9
	v_add_f64_e32 v[44:45], v[40:41], v[0:1]
	v_add_f64_e32 v[46:47], v[42:43], v[2:3]
	s_wait_loadcnt 0x0
	v_add_f64_e32 v[55:56], v[4:5], v[40:41]
	v_add_f64_e64 v[57:58], v[40:41], -v[4:5]
	v_add_f64_e32 v[67:68], v[12:13], v[32:33]
	v_add_f64_e32 v[69:70], v[14:15], v[34:35]
	v_add_f64_e64 v[71:72], v[32:33], -v[12:13]
	v_add_f64_e64 v[73:74], v[34:35], -v[14:15]
	s_mov_b32 s0, 0x8764f0ba
	s_mov_b32 s10, 0xf8bb580b
	;; [unrolled: 1-line block ×12, first 2 shown]
	s_wait_alu 0xfffe
	s_mov_b32 s20, s10
	s_mov_b32 s18, s12
	;; [unrolled: 1-line block ×9, first 2 shown]
	v_add_f64_e32 v[40:41], v[6:7], v[42:43]
	v_add_f64_e64 v[42:43], v[42:43], -v[6:7]
	s_mov_b32 s27, 0xbfe4f49e
	s_mov_b32 s29, 0x3fe82f19
	;; [unrolled: 1-line block ×3, first 2 shown]
	v_add_f64_e32 v[59:60], v[8:9], v[36:37]
	s_mov_b32 s35, 0xbfeeb42a
	s_mov_b32 s36, 0xfd768dbf
	v_add_f64_e64 v[65:66], v[36:37], -v[8:9]
	v_add_f64_e32 v[61:62], v[36:37], v[44:45]
	v_add_f64_e32 v[63:64], v[38:39], v[46:47]
	s_wait_alu 0xfffe
	s_mov_b32 s30, s28
	v_mul_f64_e32 v[89:90], s[0:1], v[55:56]
	v_mul_f64_e32 v[91:92], s[20:21], v[57:58]
	v_mul_f64_e32 v[93:94], s[4:5], v[55:56]
	v_mul_f64_e32 v[95:96], s[18:19], v[57:58]
	s_mov_b32 s37, 0x3fd207e7
	s_mov_b32 s39, 0xbfd207e7
	;; [unrolled: 1-line block ×3, first 2 shown]
	v_mul_f64_e32 v[97:98], s[14:15], v[55:56]
	v_mul_f64_e32 v[99:100], s[24:25], v[57:58]
	;; [unrolled: 1-line block ×4, first 2 shown]
	s_wait_alu 0xfffe
	v_mul_f64_e32 v[103:104], s[30:31], v[57:58]
	v_mul_f64_e32 v[57:58], s[38:39], v[57:58]
	v_add_f64_e32 v[75:76], v[16:17], v[28:29]
	v_add_f64_e32 v[46:47], v[18:19], v[30:31]
	v_add_f64_e64 v[77:78], v[28:29], -v[16:17]
	v_add_f64_e64 v[50:51], v[30:31], -v[18:19]
	v_add_f64_e32 v[86:87], v[10:11], v[38:39]
	v_add_f64_e64 v[38:39], v[38:39], -v[10:11]
	v_add_f64_e32 v[79:80], v[20:21], v[24:25]
	v_add_f64_e32 v[36:37], v[22:23], v[26:27]
	v_add_f64_e64 v[81:82], v[24:25], -v[20:21]
	v_add_f64_e64 v[44:45], v[26:27], -v[22:23]
	v_mul_f64_e32 v[117:118], s[14:15], v[67:68]
	v_mul_f64_e32 v[119:120], s[34:35], v[67:68]
	;; [unrolled: 1-line block ×12, first 2 shown]
	v_add_f64_e32 v[32:33], v[32:33], v[61:62]
	v_add_f64_e32 v[34:35], v[34:35], v[63:64]
	v_mul_f64_e32 v[59:60], s[0:1], v[59:60]
	v_mul_f64_e32 v[61:62], s[18:19], v[65:66]
	;; [unrolled: 1-line block ×3, first 2 shown]
	v_fma_f64 v[159:160], v[42:43], s[10:11], v[89:90]
	v_fma_f64 v[161:162], v[40:41], s[0:1], v[91:92]
	;; [unrolled: 1-line block ×3, first 2 shown]
	v_fma_f64 v[91:92], v[40:41], s[0:1], -v[91:92]
	v_mul_f64_e32 v[113:114], s[36:37], v[65:66]
	v_fma_f64 v[163:164], v[42:43], s[22:23], v[97:98]
	v_fma_f64 v[165:166], v[40:41], s[14:15], v[99:100]
	v_mul_f64_e32 v[115:116], s[22:23], v[65:66]
	v_fma_f64 v[97:98], v[42:43], s[24:25], v[97:98]
	v_fma_f64 v[167:168], v[42:43], s[28:29], v[101:102]
	;; [unrolled: 1-line block ×4, first 2 shown]
	v_mul_f64_e32 v[65:66], s[10:11], v[65:66]
	v_fma_f64 v[171:172], v[40:41], s[34:35], v[57:58]
	v_fma_f64 v[99:100], v[40:41], s[14:15], -v[99:100]
	v_mul_f64_e32 v[131:132], s[20:21], v[71:72]
	v_mul_f64_e32 v[71:72], s[30:31], v[71:72]
	;; [unrolled: 1-line block ×9, first 2 shown]
	v_fma_f64 v[189:190], v[73:74], s[10:11], v[123:124]
	v_fma_f64 v[123:124], v[73:74], s[20:21], v[123:124]
	;; [unrolled: 1-line block ×4, first 2 shown]
	v_mul_f64_e32 v[145:146], s[20:21], v[77:78]
	v_mul_f64_e32 v[147:148], s[38:39], v[77:78]
	v_fma_f64 v[173:174], v[38:39], s[28:29], v[107:108]
	v_fma_f64 v[107:108], v[38:39], s[30:31], v[107:108]
	;; [unrolled: 1-line block ×3, first 2 shown]
	v_add_f64_e32 v[28:29], v[28:29], v[32:33]
	v_add_f64_e32 v[30:31], v[30:31], v[34:35]
	v_fma_f64 v[32:33], v[42:43], s[12:13], v[93:94]
	v_fma_f64 v[34:35], v[40:41], s[4:5], v[95:96]
	;; [unrolled: 1-line block ×5, first 2 shown]
	v_fma_f64 v[95:96], v[40:41], s[4:5], -v[95:96]
	v_fma_f64 v[103:104], v[40:41], s[26:27], -v[103:104]
	;; [unrolled: 1-line block ×3, first 2 shown]
	v_fma_f64 v[57:58], v[38:39], s[12:13], v[105:106]
	v_fma_f64 v[105:106], v[38:39], s[18:19], v[105:106]
	;; [unrolled: 1-line block ×8, first 2 shown]
	v_fma_f64 v[61:62], v[86:87], s[4:5], -v[61:62]
	v_fma_f64 v[181:182], v[86:87], s[26:27], v[63:64]
	v_add_f64_e32 v[159:160], v[0:1], v[159:160]
	v_add_f64_e32 v[89:90], v[0:1], v[89:90]
	;; [unrolled: 1-line block ×3, first 2 shown]
	v_fma_f64 v[183:184], v[86:87], s[34:35], v[113:114]
	v_add_f64_e32 v[163:164], v[0:1], v[163:164]
	v_add_f64_e32 v[165:166], v[2:3], v[165:166]
	v_fma_f64 v[185:186], v[86:87], s[14:15], v[115:116]
	v_add_f64_e32 v[97:98], v[0:1], v[97:98]
	v_add_f64_e32 v[167:168], v[0:1], v[167:168]
	;; [unrolled: 3-line block ×3, first 2 shown]
	v_add_f64_e32 v[171:172], v[2:3], v[171:172]
	v_fma_f64 v[65:66], v[86:87], s[0:1], -v[65:66]
	v_add_f64_e32 v[161:162], v[2:3], v[161:162]
	v_add_f64_e32 v[99:100], v[2:3], v[99:100]
	v_fma_f64 v[115:116], v[86:87], s[14:15], -v[115:116]
	v_fma_f64 v[113:114], v[86:87], s[34:35], -v[113:114]
	v_add_f64_e32 v[24:25], v[24:25], v[28:29]
	v_add_f64_e32 v[26:27], v[26:27], v[30:31]
	;; [unrolled: 1-line block ×10, first 2 shown]
	v_fma_f64 v[63:64], v[86:87], s[26:27], -v[63:64]
	v_fma_f64 v[28:29], v[73:74], s[22:23], v[117:118]
	v_fma_f64 v[30:31], v[73:74], s[24:25], v[117:118]
	;; [unrolled: 1-line block ×7, first 2 shown]
	v_fma_f64 v[125:126], v[69:70], s[14:15], -v[125:126]
	v_fma_f64 v[40:41], v[69:70], s[34:35], v[127:128]
	v_add_f64_e32 v[57:58], v[57:58], v[159:160]
	v_add_f64_e32 v[89:90], v[105:106], v[89:90]
	v_add_f64_e32 v[61:62], v[61:62], v[91:92]
	v_fma_f64 v[42:43], v[69:70], s[34:35], -v[127:128]
	v_fma_f64 v[127:128], v[69:70], s[4:5], v[129:130]
	v_add_f64_e32 v[163:164], v[175:176], v[163:164]
	v_add_f64_e32 v[165:166], v[183:184], v[165:166]
	v_add_f64_e32 v[97:98], v[109:110], v[97:98]
	v_add_f64_e32 v[109:110], v[177:178], v[167:168]
	v_mul_f64_e32 v[77:78], s[12:13], v[77:78]
	v_add_f64_e32 v[101:102], v[111:112], v[101:102]
	v_add_f64_e32 v[111:112], v[179:180], v[169:170]
	;; [unrolled: 1-line block ×3, first 2 shown]
	v_fma_f64 v[129:130], v[69:70], s[4:5], -v[129:130]
	v_add_f64_e32 v[59:60], v[59:60], v[161:162]
	v_mul_f64_e32 v[149:150], s[34:35], v[79:80]
	v_mul_f64_e32 v[151:152], s[0:1], v[79:80]
	;; [unrolled: 1-line block ×3, first 2 shown]
	v_add_f64_e32 v[20:21], v[20:21], v[24:25]
	v_add_f64_e32 v[22:23], v[22:23], v[26:27]
	;; [unrolled: 1-line block ×5, first 2 shown]
	v_fma_f64 v[24:25], v[69:70], s[0:1], v[131:132]
	v_add_f64_e32 v[55:56], v[185:186], v[55:56]
	v_fma_f64 v[26:27], v[69:70], s[0:1], -v[131:132]
	v_fma_f64 v[131:132], v[69:70], s[26:27], v[71:72]
	v_fma_f64 v[69:70], v[69:70], s[26:27], -v[71:72]
	v_add_f64_e32 v[0:1], v[38:39], v[0:1]
	v_add_f64_e32 v[2:3], v[65:66], v[2:3]
	;; [unrolled: 1-line block ×5, first 2 shown]
	v_mul_f64_e32 v[155:156], s[4:5], v[79:80]
	v_mul_f64_e32 v[79:80], s[14:15], v[79:80]
	;; [unrolled: 1-line block ×7, first 2 shown]
	v_fma_f64 v[91:92], v[50:51], s[28:29], v[133:134]
	v_fma_f64 v[133:134], v[50:51], s[30:31], v[133:134]
	;; [unrolled: 1-line block ×4, first 2 shown]
	v_add_f64_e32 v[28:29], v[28:29], v[57:58]
	v_add_f64_e32 v[30:31], v[30:31], v[89:90]
	v_add_f64_e32 v[57:58], v[125:126], v[61:62]
	v_fma_f64 v[135:136], v[50:51], s[22:23], v[135:136]
	v_fma_f64 v[181:182], v[50:51], s[10:11], v[137:138]
	;; [unrolled: 1-line block ×3, first 2 shown]
	v_add_f64_e32 v[61:62], v[119:120], v[163:164]
	v_fma_f64 v[107:108], v[50:51], s[36:37], v[139:140]
	v_fma_f64 v[115:116], v[46:47], s[34:35], v[147:148]
	;; [unrolled: 1-line block ×3, first 2 shown]
	v_fma_f64 v[99:100], v[46:47], s[14:15], -v[143:144]
	v_fma_f64 v[143:144], v[46:47], s[4:5], v[77:78]
	v_add_f64_e32 v[16:17], v[16:17], v[20:21]
	v_add_f64_e32 v[18:19], v[18:19], v[22:23]
	v_fma_f64 v[20:21], v[50:51], s[18:19], v[75:76]
	v_fma_f64 v[22:23], v[50:51], s[12:13], v[75:76]
	v_fma_f64 v[75:76], v[46:47], s[26:27], -v[141:142]
	v_add_f64_e32 v[32:33], v[86:87], v[32:33]
	v_add_f64_e32 v[34:35], v[40:41], v[34:35]
	v_add_f64_e32 v[40:41], v[117:118], v[93:94]
	v_add_f64_e32 v[86:87], v[127:128], v[165:166]
	v_add_f64_e32 v[93:94], v[189:190], v[109:110]
	v_add_f64_e32 v[24:25], v[24:25], v[55:56]
	v_add_f64_e32 v[89:90], v[121:122], v[97:98]
	v_add_f64_e32 v[55:56], v[123:124], v[101:102]
	v_add_f64_e32 v[97:98], v[191:192], v[111:112]
	v_add_f64_e32 v[101:102], v[131:132], v[167:168]
	v_fma_f64 v[139:140], v[50:51], s[38:39], v[139:140]
	v_fma_f64 v[50:51], v[46:47], s[26:27], v[141:142]
	v_fma_f64 v[113:114], v[46:47], s[0:1], -v[145:146]
	v_fma_f64 v[141:142], v[46:47], s[34:35], -v[147:148]
	v_fma_f64 v[46:47], v[46:47], s[4:5], -v[77:78]
	v_add_f64_e32 v[0:1], v[67:68], v[0:1]
	v_add_f64_e32 v[2:3], v[69:70], v[2:3]
	v_add_f64_e32 v[26:27], v[26:27], v[38:39]
	v_add_f64_e32 v[38:39], v[129:130], v[65:66]
	v_add_f64_e32 v[42:43], v[42:43], v[63:64]
	v_add_f64_e32 v[59:60], v[73:74], v[59:60]
	v_fma_f64 v[77:78], v[44:45], s[36:37], v[149:150]
	v_fma_f64 v[145:146], v[44:45], s[38:39], v[149:150]
	;; [unrolled: 1-line block ×11, first 2 shown]
	v_fma_f64 v[109:110], v[36:37], s[0:1], -v[157:158]
	v_add_f64_e32 v[12:13], v[12:13], v[16:17]
	v_add_f64_e32 v[14:15], v[14:15], v[18:19]
	v_fma_f64 v[18:19], v[36:37], s[34:35], -v[81:82]
	v_add_f64_e32 v[16:17], v[91:92], v[28:29]
	v_add_f64_e32 v[28:29], v[133:134], v[30:31]
	;; [unrolled: 1-line block ×5, first 2 shown]
	v_fma_f64 v[111:112], v[36:37], s[26:27], v[71:72]
	v_fma_f64 v[71:72], v[36:37], s[26:27], -v[71:72]
	v_fma_f64 v[117:118], v[36:37], s[4:5], v[159:160]
	v_fma_f64 v[119:120], v[36:37], s[4:5], -v[159:160]
	;; [unrolled: 2-line block ×3, first 2 shown]
	v_fma_f64 v[81:82], v[36:37], s[34:35], v[81:82]
	v_add_f64_e32 v[36:37], v[135:136], v[40:41]
	v_add_f64_e32 v[40:41], v[181:182], v[61:62]
	;; [unrolled: 1-line block ×15, first 2 shown]
	s_load_b64 s[2:3], s[2:3], 0x0
	v_add_f64_e32 v[59:60], v[8:9], v[12:13]
	v_add_f64_e32 v[93:94], v[10:11], v[14:15]
	;; [unrolled: 1-line block ×22, first 2 shown]
	v_and_b32_e32 v44, 1, v54
	v_lshlrev_b32_e32 v54, 4, v53
	s_delay_alu instid0(VALU_DEP_2) | instskip(SKIP_3) | instid1(VALU_DEP_3)
	v_cmp_eq_u32_e64 s0, 1, v44
	v_add_f64_e32 v[4:5], v[4:5], v[59:60]
	v_add_f64_e32 v[6:7], v[6:7], v[93:94]
	s_wait_alu 0xf1ff
	v_cndmask_b32_e64 v50, 0, 0x2d6, s0
	v_cmp_gt_u32_e64 s0, 55, v52
	s_delay_alu instid0(VALU_DEP_2) | instskip(SKIP_1) | instid1(VALU_DEP_2)
	v_lshl_add_u32 v44, v50, 4, 0
	v_lshlrev_b32_e32 v55, 4, v50
	v_mad_u32_u24 v45, 0xb0, v52, v44
	v_lshl_add_u32 v68, v52, 4, v44
	ds_store_b128 v45, v[28:31] offset:32
	ds_store_b128 v45, v[32:35] offset:48
	;; [unrolled: 1-line block ×10, first 2 shown]
	ds_store_b128 v45, v[4:7]
	v_mad_i32_i24 v72, 0xffffff60, v52, v45
	global_wb scope:SCOPE_SE
	s_wait_dscnt 0x0
	s_wait_kmcnt 0x0
	s_barrier_signal -1
	s_barrier_wait -1
	global_inv scope:SCOPE_SE
	ds_load_b128 v[24:27], v68
	ds_load_b128 v[36:39], v72 offset:1936
	ds_load_b128 v[28:31], v72 offset:3872
	;; [unrolled: 1-line block ×5, first 2 shown]
                                        ; implicit-def: $vgpr6_vgpr7
	s_and_saveexec_b32 s1, s0
	s_cbranch_execz .LBB0_15
; %bb.14:
	v_add3_u32 v0, 0, v54, v55
	ds_load_b128 v[8:11], v72 offset:2992
	ds_load_b128 v[12:15], v72 offset:4928
	;; [unrolled: 1-line block ×4, first 2 shown]
	ds_load_b128 v[0:3], v0
	ds_load_b128 v[4:7], v72 offset:10736
.LBB0_15:
	s_wait_alu 0xfffe
	s_or_b32 exec_lo, exec_lo, s1
	v_and_b32_e32 v50, 0xff, v52
	s_mov_b32 s4, 0xe8584caa
	s_mov_b32 s5, 0x3febb67a
	;; [unrolled: 1-line block ×3, first 2 shown]
	s_wait_alu 0xfffe
	s_mov_b32 s10, s4
	v_mul_lo_u16 v50, 0x75, v50
	s_delay_alu instid0(VALU_DEP_1) | instskip(NEXT) | instid1(VALU_DEP_1)
	v_lshrrev_b16 v50, 8, v50
	v_sub_nc_u16 v51, v52, v50
	s_delay_alu instid0(VALU_DEP_1) | instskip(NEXT) | instid1(VALU_DEP_1)
	v_lshrrev_b16 v51, 1, v51
	v_and_b32_e32 v51, 0x7f, v51
	s_delay_alu instid0(VALU_DEP_1) | instskip(NEXT) | instid1(VALU_DEP_1)
	v_add_nc_u16 v50, v51, v50
	v_lshrrev_b16 v71, 3, v50
	s_delay_alu instid0(VALU_DEP_1) | instskip(NEXT) | instid1(VALU_DEP_1)
	v_mul_lo_u16 v50, v71, 11
	v_sub_nc_u16 v50, v52, v50
	s_delay_alu instid0(VALU_DEP_1) | instskip(NEXT) | instid1(VALU_DEP_1)
	v_and_b32_e32 v83, 0xff, v50
	v_mul_u32_u24_e32 v50, 5, v83
	s_delay_alu instid0(VALU_DEP_1)
	v_lshlrev_b32_e32 v50, 4, v50
	s_clause 0x4
	global_load_b128 v[56:59], v50, s[8:9] offset:32
	global_load_b128 v[60:63], v50, s[8:9] offset:64
	global_load_b128 v[64:67], v50, s[8:9]
	global_load_b128 v[73:76], v50, s[8:9] offset:16
	global_load_b128 v[77:80], v50, s[8:9] offset:48
	global_wb scope:SCOPE_SE
	s_wait_loadcnt_dscnt 0x0
	s_barrier_signal -1
	s_barrier_wait -1
	global_inv scope:SCOPE_SE
	v_mul_f64_e32 v[50:51], v[42:43], v[58:59]
	v_mul_f64_e32 v[58:59], v[40:41], v[58:59]
	;; [unrolled: 1-line block ×6, first 2 shown]
	v_fma_f64 v[40:41], v[40:41], v[56:57], -v[50:51]
	v_fma_f64 v[42:43], v[42:43], v[56:57], v[58:59]
	v_fma_f64 v[46:47], v[46:47], v[60:61], v[69:70]
	v_fma_f64 v[44:45], v[44:45], v[60:61], -v[62:63]
	v_mul_f64_e32 v[50:51], v[30:31], v[75:76]
	v_mul_f64_e32 v[56:57], v[28:29], v[75:76]
	;; [unrolled: 1-line block ×4, first 2 shown]
	v_fma_f64 v[36:37], v[36:37], v[64:65], -v[81:82]
	v_fma_f64 v[38:39], v[38:39], v[64:65], v[66:67]
	v_add_f64_e32 v[62:63], v[42:43], v[46:47]
	v_add_f64_e32 v[64:65], v[40:41], v[44:45]
	v_fma_f64 v[28:29], v[28:29], v[73:74], -v[50:51]
	v_fma_f64 v[30:31], v[30:31], v[73:74], v[56:57]
	v_fma_f64 v[32:33], v[32:33], v[77:78], -v[58:59]
	v_fma_f64 v[34:35], v[34:35], v[77:78], v[60:61]
	v_add_f64_e64 v[50:51], v[42:43], -v[46:47]
	v_add_f64_e64 v[56:57], v[40:41], -v[44:45]
	v_fma_f64 v[58:59], v[62:63], -0.5, v[38:39]
	v_fma_f64 v[60:61], v[64:65], -0.5, v[36:37]
	v_add_f64_e32 v[36:37], v[36:37], v[40:41]
	v_add_f64_e32 v[38:39], v[38:39], v[42:43]
	;; [unrolled: 1-line block ×4, first 2 shown]
	s_wait_alu 0xfffe
	v_fma_f64 v[66:67], v[56:57], s[10:11], v[58:59]
	v_fma_f64 v[69:70], v[50:51], s[10:11], v[60:61]
	;; [unrolled: 1-line block ×4, first 2 shown]
	v_add_f64_e32 v[58:59], v[24:25], v[28:29]
	v_add_f64_e64 v[60:61], v[30:31], -v[34:35]
	v_add_f64_e32 v[30:31], v[26:27], v[30:31]
	v_fma_f64 v[24:25], v[62:63], -0.5, v[24:25]
	v_add_f64_e64 v[28:29], v[28:29], -v[32:33]
	v_fma_f64 v[26:27], v[64:65], -0.5, v[26:27]
	v_mul_f64_e32 v[40:41], s[4:5], v[66:67]
	v_mul_f64_e32 v[42:43], -0.5, v[69:70]
	v_mul_f64_e32 v[62:63], s[10:11], v[50:51]
	v_mul_f64_e32 v[64:65], -0.5, v[56:57]
	v_add_f64_e32 v[32:33], v[58:59], v[32:33]
	v_add_f64_e32 v[30:31], v[30:31], v[34:35]
	;; [unrolled: 1-line block ×4, first 2 shown]
	v_fma_f64 v[44:45], v[60:61], s[4:5], v[24:25]
	v_fma_f64 v[58:59], v[28:29], s[10:11], v[26:27]
	;; [unrolled: 1-line block ×4, first 2 shown]
	v_fma_f64 v[40:41], v[50:51], 0.5, v[40:41]
	v_fma_f64 v[42:43], v[56:57], s[4:5], v[42:43]
	v_fma_f64 v[50:51], v[66:67], 0.5, v[62:63]
	v_fma_f64 v[56:57], v[69:70], s[10:11], v[64:65]
	v_add_f64_e32 v[24:25], v[32:33], v[34:35]
	v_add_f64_e32 v[26:27], v[30:31], v[36:37]
	v_add_f64_e64 v[28:29], v[32:33], -v[34:35]
	v_add_f64_e64 v[30:31], v[30:31], -v[36:37]
	v_add_f64_e32 v[32:33], v[44:45], v[40:41]
	v_add_f64_e32 v[36:37], v[46:47], v[42:43]
	;; [unrolled: 1-line block ×4, first 2 shown]
	v_add_f64_e64 v[40:41], v[44:45], -v[40:41]
	v_add_f64_e64 v[44:45], v[46:47], -v[42:43]
	;; [unrolled: 1-line block ×4, first 2 shown]
	v_and_b32_e32 v50, 0xffff, v71
	v_lshlrev_b32_e32 v51, 4, v83
	s_delay_alu instid0(VALU_DEP_2) | instskip(NEXT) | instid1(VALU_DEP_1)
	v_mad_u32_u24 v50, 0x420, v50, 0
	v_add3_u32 v50, v50, v51, v55
	ds_store_b128 v50, v[24:27]
	ds_store_b128 v50, v[32:35] offset:176
	ds_store_b128 v50, v[36:39] offset:352
	;; [unrolled: 1-line block ×5, first 2 shown]
	s_and_saveexec_b32 s1, s0
	s_cbranch_execz .LBB0_17
; %bb.16:
	v_and_b32_e32 v24, 0xff, v53
	s_delay_alu instid0(VALU_DEP_1) | instskip(NEXT) | instid1(VALU_DEP_1)
	v_mul_lo_u16 v24, 0x75, v24
	v_lshrrev_b16 v24, 8, v24
	s_delay_alu instid0(VALU_DEP_1) | instskip(NEXT) | instid1(VALU_DEP_1)
	v_sub_nc_u16 v25, v53, v24
	v_lshrrev_b16 v25, 1, v25
	s_delay_alu instid0(VALU_DEP_1) | instskip(NEXT) | instid1(VALU_DEP_1)
	v_and_b32_e32 v25, 0x7f, v25
	v_add_nc_u16 v24, v25, v24
	s_delay_alu instid0(VALU_DEP_1) | instskip(NEXT) | instid1(VALU_DEP_1)
	v_lshrrev_b16 v56, 3, v24
	v_mul_lo_u16 v24, v56, 11
	s_delay_alu instid0(VALU_DEP_1) | instskip(NEXT) | instid1(VALU_DEP_1)
	v_sub_nc_u16 v24, v53, v24
	v_and_b32_e32 v53, 0xff, v24
	s_delay_alu instid0(VALU_DEP_1) | instskip(NEXT) | instid1(VALU_DEP_1)
	v_mul_u32_u24_e32 v24, 5, v53
	v_lshlrev_b32_e32 v40, 4, v24
	s_clause 0x4
	global_load_b128 v[24:27], v40, s[8:9] offset:32
	global_load_b128 v[28:31], v40, s[8:9] offset:64
	global_load_b128 v[32:35], v40, s[8:9]
	global_load_b128 v[36:39], v40, s[8:9] offset:16
	global_load_b128 v[40:43], v40, s[8:9] offset:48
	s_wait_loadcnt 0x4
	v_mul_f64_e32 v[44:45], v[20:21], v[26:27]
	s_wait_loadcnt 0x3
	v_mul_f64_e32 v[46:47], v[4:5], v[30:31]
	v_mul_f64_e32 v[26:27], v[22:23], v[26:27]
	;; [unrolled: 1-line block ×3, first 2 shown]
	s_wait_loadcnt 0x2
	v_mul_f64_e32 v[50:51], v[10:11], v[34:35]
	v_mul_f64_e32 v[34:35], v[8:9], v[34:35]
	v_fma_f64 v[22:23], v[22:23], v[24:25], v[44:45]
	v_fma_f64 v[6:7], v[6:7], v[28:29], v[46:47]
	v_fma_f64 v[20:21], v[20:21], v[24:25], -v[26:27]
	v_fma_f64 v[4:5], v[4:5], v[28:29], -v[30:31]
	s_wait_loadcnt 0x1
	v_mul_f64_e32 v[24:25], v[14:15], v[38:39]
	v_mul_f64_e32 v[26:27], v[12:13], v[38:39]
	s_wait_loadcnt 0x0
	v_mul_f64_e32 v[28:29], v[16:17], v[42:43]
	v_mul_f64_e32 v[30:31], v[18:19], v[42:43]
	v_fma_f64 v[10:11], v[10:11], v[32:33], v[34:35]
	v_fma_f64 v[8:9], v[8:9], v[32:33], -v[50:51]
	v_add_f64_e32 v[34:35], v[22:23], v[6:7]
	v_add_f64_e32 v[32:33], v[20:21], v[4:5]
	v_fma_f64 v[12:13], v[12:13], v[36:37], -v[24:25]
	v_fma_f64 v[14:15], v[14:15], v[36:37], v[26:27]
	v_fma_f64 v[18:19], v[18:19], v[40:41], v[28:29]
	v_fma_f64 v[16:17], v[16:17], v[40:41], -v[30:31]
	v_add_f64_e64 v[24:25], v[20:21], -v[4:5]
	v_add_f64_e64 v[28:29], v[22:23], -v[6:7]
	v_fma_f64 v[26:27], v[34:35], -0.5, v[10:11]
	v_add_f64_e32 v[10:11], v[10:11], v[22:23]
	v_fma_f64 v[30:31], v[32:33], -0.5, v[8:9]
	v_add_f64_e32 v[8:9], v[8:9], v[20:21]
	v_add_f64_e32 v[32:33], v[14:15], v[18:19]
	v_add_f64_e32 v[34:35], v[12:13], v[16:17]
	v_fma_f64 v[36:37], v[24:25], s[4:5], v[26:27]
	v_fma_f64 v[24:25], v[24:25], s[10:11], v[26:27]
	;; [unrolled: 1-line block ×4, first 2 shown]
	v_add_f64_e64 v[28:29], v[12:13], -v[16:17]
	v_add_f64_e32 v[30:31], v[2:3], v[14:15]
	v_add_f64_e32 v[12:13], v[0:1], v[12:13]
	v_fma_f64 v[2:3], v[32:33], -0.5, v[2:3]
	v_add_f64_e64 v[14:15], v[14:15], -v[18:19]
	v_fma_f64 v[0:1], v[34:35], -0.5, v[0:1]
	v_add_f64_e32 v[6:7], v[10:11], v[6:7]
	v_add_f64_e32 v[4:5], v[8:9], v[4:5]
	v_mul_f64_e32 v[20:21], -0.5, v[36:37]
	v_mul_f64_e32 v[32:33], s[4:5], v[24:25]
	v_mul_f64_e32 v[22:23], s[10:11], v[38:39]
	v_mul_f64_e32 v[34:35], -0.5, v[26:27]
	v_add_f64_e32 v[18:19], v[30:31], v[18:19]
	v_add_f64_e32 v[10:11], v[12:13], v[16:17]
	v_fma_f64 v[8:9], v[28:29], s[4:5], v[2:3]
	v_fma_f64 v[28:29], v[28:29], s[10:11], v[2:3]
	v_fma_f64 v[30:31], v[14:15], s[10:11], v[0:1]
	v_fma_f64 v[12:13], v[26:27], s[10:11], v[20:21]
	v_fma_f64 v[20:21], v[14:15], s[4:5], v[0:1]
	v_fma_f64 v[22:23], v[24:25], 0.5, v[22:23]
	v_fma_f64 v[24:25], v[38:39], 0.5, v[32:33]
	v_fma_f64 v[26:27], v[36:37], s[4:5], v[34:35]
	v_add_f64_e64 v[2:3], v[18:19], -v[6:7]
	v_add_f64_e64 v[0:1], v[10:11], -v[4:5]
	v_add_f64_e32 v[6:7], v[18:19], v[6:7]
	v_add_f64_e32 v[4:5], v[10:11], v[4:5]
	v_add_f64_e64 v[10:11], v[8:9], -v[12:13]
	v_add_f64_e32 v[14:15], v[8:9], v[12:13]
	v_add_f64_e32 v[18:19], v[28:29], v[22:23]
	;; [unrolled: 1-line block ×4, first 2 shown]
	v_add_f64_e64 v[22:23], v[28:29], -v[22:23]
	v_add_f64_e64 v[20:21], v[20:21], -v[24:25]
	;; [unrolled: 1-line block ×3, first 2 shown]
	v_and_b32_e32 v24, 0xffff, v56
	v_lshlrev_b32_e32 v25, 4, v53
	s_delay_alu instid0(VALU_DEP_2) | instskip(NEXT) | instid1(VALU_DEP_1)
	v_mad_u32_u24 v24, 0x420, v24, 0
	v_add3_u32 v24, v24, v25, v55
	ds_store_b128 v24, v[4:7]
	ds_store_b128 v24, v[16:19] offset:176
	ds_store_b128 v24, v[12:15] offset:352
	;; [unrolled: 1-line block ×5, first 2 shown]
.LBB0_17:
	s_wait_alu 0xfffe
	s_or_b32 exec_lo, exec_lo, s1
	global_wb scope:SCOPE_SE
	s_wait_dscnt 0x0
	s_barrier_signal -1
	s_barrier_wait -1
	global_inv scope:SCOPE_SE
	s_and_saveexec_b32 s0, vcc_lo
	s_cbranch_execz .LBB0_19
; %bb.18:
	v_mul_u32_u24_e32 v0, 10, v52
	v_add_nc_u32_e32 v127, 0x84, v88
	v_mul_lo_u32 v89, s3, v48
	v_mul_lo_u32 v90, s2, v49
	v_mad_co_u64_u32 v[86:87], null, s2, v48, 0
	s_delay_alu instid0(VALU_DEP_4)
	v_mad_co_u64_u32 v[97:98], null, s16, v127, 0
	v_lshlrev_b32_e32 v0, 4, v0
	v_add_nc_u32_e32 v130, 0x14a, v88
	s_clause 0x9
	global_load_b128 v[16:19], v0, s[8:9] offset:880
	global_load_b128 v[12:15], v0, s[8:9] offset:896
	;; [unrolled: 1-line block ×10, first 2 shown]
	v_add3_u32 v0, 0, v54, v55
	ds_load_b128 v[48:51], v72 offset:5280
	ds_load_b128 v[44:47], v72 offset:6336
	ds_load_b128 v[80:83], v0
	ds_load_b128 v[52:55], v72 offset:4224
	ds_load_b128 v[64:67], v72 offset:3168
	;; [unrolled: 1-line block ×5, first 2 shown]
	ds_load_b128 v[0:3], v68
	ds_load_b128 v[68:71], v72 offset:9504
	ds_load_b128 v[72:75], v72 offset:10560
	v_mad_co_u64_u32 v[93:94], null, s16, v88, 0
	v_mad_co_u64_u32 v[103:104], null, s16, v130, 0
	v_add_nc_u32_e32 v125, 0x42, v88
	v_add_nc_u32_e32 v131, 0x18c, v88
	;; [unrolled: 1-line block ×7, first 2 shown]
	v_add3_u32 v87, v87, v90, v89
	v_mad_co_u64_u32 v[99:100], null, s16, v128, 0
	v_mad_co_u64_u32 v[101:102], null, s16, v129, 0
	v_lshlrev_b64_e32 v[84:85], 4, v[84:85]
	s_delay_alu instid0(VALU_DEP_4) | instskip(SKIP_3) | instid1(VALU_DEP_4)
	v_lshlrev_b64_e32 v[86:87], 4, v[86:87]
	v_mad_co_u64_u32 v[111:112], null, s16, v134, 0
	s_mov_b32 s0, 0x640f44db
	s_mov_b32 s2, 0x43842ef
	v_mov_b32_e32 v90, v102
	s_mov_b32 s4, 0xd9c712b6
	s_mov_b32 s8, 0x8eee2c13
	;; [unrolled: 1-line block ×22, first 2 shown]
	s_wait_alu 0xfffe
	s_mov_b32 s34, s2
	s_mov_b32 s28, s20
	;; [unrolled: 1-line block ×6, first 2 shown]
	s_wait_loadcnt_dscnt 0x908
	v_mul_f64_e32 v[91:92], v[16:17], v[82:83]
	v_mul_f64_e32 v[82:83], v[18:19], v[82:83]
	s_wait_loadcnt_dscnt 0x803
	v_mul_f64_e32 v[107:108], v[12:13], v[78:79]
	v_mul_f64_e32 v[78:79], v[14:15], v[78:79]
	s_wait_loadcnt 0x7
	v_mul_f64_e32 v[113:114], v[8:9], v[66:67]
	s_wait_loadcnt 0x6
	;; [unrolled: 2-line block ×3, first 2 shown]
	v_mul_f64_e32 v[121:122], v[40:41], v[50:51]
	v_mul_f64_e32 v[50:51], v[42:43], v[50:51]
	;; [unrolled: 1-line block ×3, first 2 shown]
	s_wait_dscnt 0x1
	v_mul_f64_e32 v[117:118], v[32:33], v[70:71]
	s_wait_dscnt 0x0
	v_mul_f64_e32 v[119:120], v[28:29], v[74:75]
	s_wait_loadcnt 0x2
	v_mul_f64_e32 v[123:124], v[36:37], v[46:47]
	v_mul_f64_e32 v[46:47], v[38:39], v[46:47]
	;; [unrolled: 1-line block ×5, first 2 shown]
	v_fma_f64 v[18:19], v[18:19], v[80:81], v[91:92]
	v_fma_f64 v[16:17], v[80:81], v[16:17], -v[82:83]
	v_mov_b32_e32 v80, v94
	v_mad_co_u64_u32 v[95:96], null, s16, v125, 0
	v_mad_co_u64_u32 v[81:82], null, s16, v135, 0
	v_mov_b32_e32 v94, v104
	v_mad_co_u64_u32 v[105:106], null, s16, v131, 0
	v_add_nc_u32_e32 v133, 0x210, v88
	v_fma_f64 v[14:15], v[14:15], v[76:77], v[107:108]
	v_fma_f64 v[12:13], v[76:77], v[12:13], -v[78:79]
	v_mad_co_u64_u32 v[88:89], null, s17, v88, v[80:81]
	v_mov_b32_e32 v80, v96
	v_mov_b32_e32 v96, v106
	v_mad_co_u64_u32 v[109:110], null, s16, v133, 0
	v_mad_co_u64_u32 v[91:92], null, s16, v132, 0
	v_mov_b32_e32 v83, v98
	v_mov_b32_e32 v89, v100
	v_mad_co_u64_u32 v[125:126], null, s17, v125, v[80:81]
	v_mov_b32_e32 v98, v110
	s_delay_alu instid0(VALU_DEP_4)
	v_mad_co_u64_u32 v[126:127], null, s17, v127, v[83:84]
	v_mad_co_u64_u32 v[82:83], null, s17, v135, v[82:83]
	v_add_co_u32 v83, vcc_lo, s6, v86
	v_mad_co_u64_u32 v[127:128], null, s17, v128, v[89:90]
	v_mad_co_u64_u32 v[89:90], null, s17, v129, v[90:91]
	;; [unrolled: 1-line block ×3, first 2 shown]
	v_add_f64_e32 v[106:107], v[2:3], v[18:19]
	v_add_f64_e32 v[76:77], v[16:17], v[0:1]
	s_wait_loadcnt 0x1
	v_mul_f64_e32 v[79:80], v[24:25], v[54:55]
	s_wait_loadcnt 0x0
	v_mul_f64_e32 v[128:129], v[20:21], v[58:59]
	v_mul_f64_e32 v[54:55], v[26:27], v[54:55]
	;; [unrolled: 1-line block ×3, first 2 shown]
	v_fma_f64 v[10:11], v[10:11], v[64:65], v[113:114]
	v_fma_f64 v[6:7], v[6:7], v[60:61], v[115:116]
	v_fma_f64 v[42:43], v[42:43], v[48:49], v[121:122]
	s_wait_alu 0xfffd
	v_add_co_ci_u32_e32 v90, vcc_lo, s7, v87, vcc_lo
	v_fma_f64 v[40:41], v[48:49], v[40:41], -v[50:51]
	v_fma_f64 v[8:9], v[64:65], v[8:9], -v[66:67]
	v_fma_f64 v[34:35], v[34:35], v[68:69], v[117:118]
	v_fma_f64 v[30:31], v[30:31], v[72:73], v[119:120]
	v_fma_f64 v[36:37], v[44:45], v[36:37], -v[46:47]
	v_fma_f64 v[4:5], v[60:61], v[4:5], -v[62:63]
	;; [unrolled: 1-line block ×4, first 2 shown]
	v_mov_b32_e32 v100, v112
	v_mad_co_u64_u32 v[112:113], null, s17, v132, v[92:93]
	v_mad_co_u64_u32 v[130:131], null, s17, v131, v[96:97]
	;; [unrolled: 1-line block ×3, first 2 shown]
	v_mov_b32_e32 v94, v88
	v_mov_b32_e32 v96, v125
	;; [unrolled: 1-line block ×4, first 2 shown]
	v_add_co_u32 v210, vcc_lo, v83, v84
	v_mov_b32_e32 v110, v113
	v_fma_f64 v[38:39], v[38:39], v[44:45], v[123:124]
	v_lshlrev_b64_e32 v[44:45], 4, v[93:94]
	v_mad_co_u64_u32 v[114:115], null, s17, v134, v[100:101]
	s_wait_alu 0xfffd
	v_add_co_ci_u32_e32 v211, vcc_lo, v90, v85, vcc_lo
	v_add_f64_e32 v[86:87], v[14:15], v[106:107]
	v_add_f64_e32 v[48:49], v[12:13], v[76:77]
	v_fma_f64 v[26:27], v[26:27], v[52:53], v[79:80]
	v_fma_f64 v[24:25], v[52:53], v[24:25], -v[54:55]
	v_fma_f64 v[20:21], v[56:57], v[20:21], -v[58:59]
	v_mov_b32_e32 v106, v130
	v_add_f64_e32 v[46:47], v[10:11], v[6:7]
	v_add_f64_e64 v[54:55], v[10:11], -v[6:7]
	v_lshlrev_b64_e32 v[58:59], 4, v[95:96]
	v_fma_f64 v[22:23], v[22:23], v[56:57], v[128:129]
	v_mov_b32_e32 v98, v126
	v_mov_b32_e32 v100, v127
	v_add_f64_e32 v[50:51], v[14:15], v[34:35]
	v_add_f64_e32 v[52:53], v[18:19], v[30:31]
	v_add_f64_e64 v[14:15], v[14:15], -v[34:35]
	v_add_f64_e64 v[18:19], v[18:19], -v[30:31]
	v_lshlrev_b64_e32 v[64:65], 4, v[101:102]
	v_lshlrev_b64_e32 v[66:67], 4, v[103:104]
	;; [unrolled: 1-line block ×5, first 2 shown]
	v_add_f64_e64 v[80:81], v[8:9], -v[4:5]
	v_add_f64_e64 v[82:83], v[12:13], -v[32:33]
	;; [unrolled: 1-line block ×3, first 2 shown]
	v_add_f64_e32 v[12:13], v[12:13], v[32:33]
	v_add_f64_e32 v[16:17], v[16:17], v[28:29]
	v_mov_b32_e32 v92, v112
	v_mov_b32_e32 v112, v114
	v_lshlrev_b64_e32 v[62:63], 4, v[99:100]
	v_lshlrev_b64_e32 v[60:61], 4, v[97:98]
	v_add_f64_e64 v[78:79], v[40:41], -v[36:37]
	v_lshlrev_b64_e32 v[70:71], 4, v[91:92]
	v_add_f64_e32 v[56:57], v[42:43], v[38:39]
	v_add_f64_e64 v[92:93], v[42:43], -v[38:39]
	v_lshlrev_b64_e32 v[74:75], 4, v[111:112]
	v_add_f64_e32 v[96:97], v[40:41], v[36:37]
	v_add_co_u32 v44, vcc_lo, v210, v44
	v_add_f64_e32 v[10:11], v[10:11], v[86:87]
	v_add_f64_e32 v[48:49], v[8:9], v[48:49]
	v_add_f64_e32 v[8:9], v[8:9], v[4:5]
	s_wait_alu 0xfffd
	v_add_co_ci_u32_e32 v45, vcc_lo, v211, v45, vcc_lo
	v_add_f64_e64 v[88:89], v[24:25], -v[20:21]
	v_add_f64_e32 v[94:95], v[24:25], v[20:21]
	s_wait_alu 0xfffe
	v_mul_f64_e32 v[104:105], s[28:29], v[54:55]
	v_mul_f64_e32 v[98:99], s[12:13], v[46:47]
	v_add_f64_e32 v[86:87], v[26:27], v[22:23]
	v_add_f64_e64 v[90:91], v[26:27], -v[22:23]
	v_mul_f64_e32 v[112:113], s[10:11], v[46:47]
	v_mul_f64_e32 v[100:101], s[10:11], v[50:51]
	;; [unrolled: 1-line block ×27, first 2 shown]
	v_add_f64_e32 v[10:11], v[26:27], v[10:11]
	v_add_f64_e32 v[24:25], v[24:25], v[48:49]
	v_mul_f64_e32 v[26:27], s[22:23], v[14:15]
	v_mul_f64_e32 v[48:49], s[12:13], v[50:51]
	;; [unrolled: 1-line block ×5, first 2 shown]
	v_fma_f64 v[178:179], v[8:9], s[12:13], v[104:105]
	v_fma_f64 v[172:173], v[80:81], s[20:21], v[98:99]
	v_mul_f64_e32 v[144:145], s[4:5], v[86:87]
	v_mul_f64_e32 v[146:147], s[30:31], v[90:91]
	;; [unrolled: 1-line block ×3, first 2 shown]
	v_fma_f64 v[174:175], v[82:83], s[18:19], v[100:101]
	v_fma_f64 v[176:177], v[84:85], s[22:23], v[102:103]
	;; [unrolled: 1-line block ×8, first 2 shown]
	v_fma_f64 v[120:121], v[16:17], s[12:13], -v[120:121]
	v_fma_f64 v[190:191], v[84:85], s[2:3], v[126:127]
	v_fma_f64 v[192:193], v[16:17], s[0:1], v[128:129]
	v_fma_f64 v[126:127], v[84:85], s[34:35], v[126:127]
	v_fma_f64 v[128:129], v[16:17], s[0:1], -v[128:129]
	v_fma_f64 v[194:195], v[84:85], s[30:31], v[134:135]
	v_fma_f64 v[196:197], v[16:17], s[4:5], v[136:137]
	v_fma_f64 v[134:135], v[84:85], s[8:9], v[134:135]
	;; [unrolled: 4-line block ×3, first 2 shown]
	v_fma_f64 v[100:101], v[82:83], s[26:27], v[100:101]
	v_fma_f64 v[202:203], v[82:83], s[24:25], v[130:131]
	;; [unrolled: 1-line block ×3, first 2 shown]
	v_mul_f64_e32 v[150:151], s[24:25], v[90:91]
	v_mul_f64_e32 v[156:157], s[10:11], v[86:87]
	v_mul_f64_e32 v[158:159], s[18:19], v[90:91]
	v_add_f64_e32 v[10:11], v[42:43], v[10:11]
	v_add_f64_e32 v[24:25], v[40:41], v[24:25]
	v_fma_f64 v[42:43], v[8:9], s[12:13], -v[104:105]
	v_fma_f64 v[104:105], v[12:13], s[10:11], -v[106:107]
	;; [unrolled: 1-line block ×4, first 2 shown]
	v_fma_f64 v[108:109], v[82:83], s[34:35], v[114:115]
	v_fma_f64 v[18:19], v[12:13], s[0:1], v[122:123]
	;; [unrolled: 1-line block ×3, first 2 shown]
	v_fma_f64 v[122:123], v[12:13], s[0:1], -v[122:123]
	v_fma_f64 v[208:209], v[82:83], s[28:29], v[48:49]
	v_fma_f64 v[206:207], v[12:13], s[14:15], v[26:27]
	v_fma_f64 v[26:27], v[12:13], s[14:15], -v[26:27]
	v_add_f64_e32 v[176:177], v[2:3], v[176:177]
	v_fma_f64 v[48:49], v[82:83], s[20:21], v[48:49]
	v_add_f64_e32 v[182:183], v[0:1], v[182:183]
	v_add_f64_e32 v[102:103], v[2:3], v[102:103]
	;; [unrolled: 1-line block ×17, first 2 shown]
	v_mul_f64_e32 v[160:161], s[0:1], v[86:87]
	v_mul_f64_e32 v[162:163], s[2:3], v[90:91]
	;; [unrolled: 1-line block ×4, first 2 shown]
	v_fma_f64 v[98:99], v[80:81], s[28:29], v[98:99]
	v_fma_f64 v[40:41], v[80:81], s[26:27], v[112:113]
	v_add_f64_e32 v[10:11], v[38:39], v[10:11]
	v_add_f64_e32 v[24:25], v[36:37], v[24:25]
	v_fma_f64 v[38:39], v[82:83], s[8:9], v[50:51]
	v_fma_f64 v[36:37], v[12:13], s[4:5], -v[14:15]
	v_add_f64_e32 v[106:107], v[0:1], v[106:107]
	v_add_f64_e32 v[0:1], v[0:1], v[16:17]
	v_fma_f64 v[16:17], v[12:13], s[12:13], -v[142:143]
	v_fma_f64 v[142:143], v[12:13], s[12:13], v[142:143]
	v_fma_f64 v[50:51], v[82:83], s[30:31], v[50:51]
	;; [unrolled: 1-line block ×5, first 2 shown]
	v_fma_f64 v[118:119], v[8:9], s[10:11], -v[118:119]
	v_fma_f64 v[200:201], v[80:81], s[8:9], v[124:125]
	v_fma_f64 v[204:205], v[8:9], s[4:5], v[132:133]
	v_fma_f64 v[124:125], v[80:81], s[30:31], v[124:125]
	v_fma_f64 v[132:133], v[8:9], s[4:5], -v[132:133]
	v_fma_f64 v[84:85], v[80:81], s[24:25], v[138:139]
	v_fma_f64 v[82:83], v[8:9], s[14:15], v[140:141]
	v_fma_f64 v[138:139], v[80:81], s[22:23], v[138:139]
	;; [unrolled: 4-line block ×3, first 2 shown]
	v_fma_f64 v[8:9], v[8:9], s[0:1], -v[54:55]
	v_add_f64_e32 v[108:109], v[108:109], v[184:185]
	v_add_f64_e32 v[18:19], v[18:19], v[188:189]
	;; [unrolled: 1-line block ×9, first 2 shown]
	v_mul_f64_e32 v[166:167], s[12:13], v[56:57]
	v_mul_f64_e32 v[168:169], s[28:29], v[92:93]
	;; [unrolled: 1-line block ×4, first 2 shown]
	v_add_f64_e32 v[10:11], v[22:23], v[10:11]
	v_add_f64_e32 v[20:21], v[20:21], v[24:25]
	;; [unrolled: 1-line block ×13, first 2 shown]
	v_mul_f64_e32 v[56:57], s[14:15], v[56:57]
	v_mul_f64_e32 v[92:93], s[24:25], v[92:93]
	v_fma_f64 v[182:183], v[88:89], s[8:9], v[144:145]
	v_fma_f64 v[144:145], v[88:89], s[30:31], v[144:145]
	;; [unrolled: 1-line block ×12, first 2 shown]
	v_fma_f64 v[90:91], v[94:95], s[12:13], -v[90:91]
	v_add_f64_e32 v[40:41], v[40:41], v[108:109]
	v_add_f64_e32 v[18:19], v[186:187], v[18:19]
	v_fma_f64 v[50:51], v[94:95], s[14:15], -v[150:151]
	v_fma_f64 v[150:151], v[94:95], s[0:1], -v[162:163]
	v_add_f64_e32 v[98:99], v[98:99], v[100:101]
	v_add_f64_e32 v[100:101], v[112:113], v[114:115]
	;; [unrolled: 1-line block ×3, first 2 shown]
	v_fma_f64 v[102:103], v[94:95], s[4:5], v[146:147]
	v_fma_f64 v[130:131], v[94:95], s[10:11], -v[158:159]
	v_add_f64_e32 v[160:161], v[178:179], v[180:181]
	v_add_f64_e32 v[6:7], v[6:7], v[10:11]
	;; [unrolled: 1-line block ×10, first 2 shown]
	v_fma_f64 v[146:147], v[94:95], s[4:5], -v[146:147]
	v_fma_f64 v[126:127], v[94:95], s[10:11], v[158:159]
	v_add_f64_e32 v[158:159], v[172:173], v[174:175]
	v_add_f64_e32 v[14:15], v[200:201], v[24:25]
	;; [unrolled: 1-line block ×3, first 2 shown]
	v_fma_f64 v[136:137], v[94:95], s[0:1], v[162:163]
	v_add_f64_e32 v[20:21], v[84:85], v[36:37]
	v_add_f64_e32 v[22:23], v[82:83], v[48:49]
	;; [unrolled: 1-line block ×4, first 2 shown]
	v_fma_f64 v[176:177], v[78:79], s[2:3], v[110:111]
	v_fma_f64 v[110:111], v[78:79], s[34:35], v[110:111]
	;; [unrolled: 1-line block ×11, first 2 shown]
	v_fma_f64 v[78:79], v[96:97], s[14:15], -v[92:93]
	v_add_f64_e32 v[40:41], v[106:107], v[40:41]
	v_add_f64_e32 v[18:19], v[184:185], v[18:19]
	v_fma_f64 v[116:117], v[96:97], s[10:11], v[54:55]
	v_fma_f64 v[54:55], v[96:97], s[10:11], -v[54:55]
	v_fma_f64 v[94:95], v[96:97], s[0:1], v[152:153]
	v_fma_f64 v[152:153], v[96:97], s[0:1], -v[152:153]
	v_fma_f64 v[46:47], v[96:97], s[4:5], -v[164:165]
	v_add_f64_e32 v[34:35], v[34:35], v[6:7]
	v_add_f64_e32 v[32:33], v[32:33], v[4:5]
	;; [unrolled: 1-line block ×3, first 2 shown]
	v_fma_f64 v[80:81], v[96:97], s[12:13], v[168:169]
	v_fma_f64 v[84:85], v[96:97], s[12:13], -v[168:169]
	v_add_f64_e32 v[86:87], v[90:91], v[0:1]
	v_add_f64_e32 v[50:51], v[50:51], v[104:105]
	;; [unrolled: 1-line block ×4, first 2 shown]
	v_fma_f64 v[122:123], v[96:97], s[14:15], v[92:93]
	v_add_f64_e32 v[96:97], v[102:103], v[160:161]
	v_add_f64_e32 v[102:103], v[128:129], v[108:109]
	;; [unrolled: 1-line block ×13, first 2 shown]
	v_add_co_u32 v58, vcc_lo, v210, v58
	s_wait_alu 0xfffd
	v_add_co_ci_u32_e32 v59, vcc_lo, v211, v59, vcc_lo
	v_add_co_u32 v60, vcc_lo, v210, v60
	s_wait_alu 0xfffd
	v_add_co_ci_u32_e32 v61, vcc_lo, v211, v61, vcc_lo
	v_add_f64_e32 v[10:11], v[24:25], v[40:41]
	v_add_f64_e32 v[8:9], v[26:27], v[18:19]
	v_add_co_u32 v62, vcc_lo, v210, v62
	s_wait_alu 0xfffd
	v_add_co_ci_u32_e32 v63, vcc_lo, v211, v63, vcc_lo
	v_add_f64_e32 v[30:31], v[30:31], v[34:35]
	v_add_f64_e32 v[28:29], v[28:29], v[32:33]
	;; [unrolled: 1-line block ×7, first 2 shown]
	v_add_co_u32 v46, vcc_lo, v210, v64
	v_add_f64_e32 v[18:19], v[82:83], v[102:103]
	v_add_f64_e32 v[16:17], v[84:85], v[106:107]
	;; [unrolled: 1-line block ×13, first 2 shown]
	s_wait_alu 0xfffd
	v_add_co_ci_u32_e32 v47, vcc_lo, v211, v65, vcc_lo
	v_add_co_u32 v48, vcc_lo, v210, v66
	s_wait_alu 0xfffd
	v_add_co_ci_u32_e32 v49, vcc_lo, v211, v67, vcc_lo
	v_add_co_u32 v50, vcc_lo, v210, v68
	;; [unrolled: 3-line block ×6, first 2 shown]
	s_wait_alu 0xfffd
	v_add_co_ci_u32_e32 v65, vcc_lo, v211, v77, vcc_lo
	s_clause 0xa
	global_store_b128 v[44:45], v[28:31], off
	global_store_b128 v[58:59], v[24:27], off
	;; [unrolled: 1-line block ×11, first 2 shown]
.LBB0_19:
	s_nop 0
	s_sendmsg sendmsg(MSG_DEALLOC_VGPRS)
	s_endpgm
	.section	.rodata,"a",@progbits
	.p2align	6, 0x0
	.amdhsa_kernel fft_rtc_fwd_len726_factors_11_6_11_wgs_132_tpt_66_dp_op_CI_CI_sbrr_dirReg
		.amdhsa_group_segment_fixed_size 0
		.amdhsa_private_segment_fixed_size 0
		.amdhsa_kernarg_size 104
		.amdhsa_user_sgpr_count 2
		.amdhsa_user_sgpr_dispatch_ptr 0
		.amdhsa_user_sgpr_queue_ptr 0
		.amdhsa_user_sgpr_kernarg_segment_ptr 1
		.amdhsa_user_sgpr_dispatch_id 0
		.amdhsa_user_sgpr_private_segment_size 0
		.amdhsa_wavefront_size32 1
		.amdhsa_uses_dynamic_stack 0
		.amdhsa_enable_private_segment 0
		.amdhsa_system_sgpr_workgroup_id_x 1
		.amdhsa_system_sgpr_workgroup_id_y 0
		.amdhsa_system_sgpr_workgroup_id_z 0
		.amdhsa_system_sgpr_workgroup_info 0
		.amdhsa_system_vgpr_workitem_id 0
		.amdhsa_next_free_vgpr 212
		.amdhsa_next_free_sgpr 43
		.amdhsa_reserve_vcc 1
		.amdhsa_float_round_mode_32 0
		.amdhsa_float_round_mode_16_64 0
		.amdhsa_float_denorm_mode_32 3
		.amdhsa_float_denorm_mode_16_64 3
		.amdhsa_fp16_overflow 0
		.amdhsa_workgroup_processor_mode 1
		.amdhsa_memory_ordered 1
		.amdhsa_forward_progress 0
		.amdhsa_round_robin_scheduling 0
		.amdhsa_exception_fp_ieee_invalid_op 0
		.amdhsa_exception_fp_denorm_src 0
		.amdhsa_exception_fp_ieee_div_zero 0
		.amdhsa_exception_fp_ieee_overflow 0
		.amdhsa_exception_fp_ieee_underflow 0
		.amdhsa_exception_fp_ieee_inexact 0
		.amdhsa_exception_int_div_zero 0
	.end_amdhsa_kernel
	.text
.Lfunc_end0:
	.size	fft_rtc_fwd_len726_factors_11_6_11_wgs_132_tpt_66_dp_op_CI_CI_sbrr_dirReg, .Lfunc_end0-fft_rtc_fwd_len726_factors_11_6_11_wgs_132_tpt_66_dp_op_CI_CI_sbrr_dirReg
                                        ; -- End function
	.section	.AMDGPU.csdata,"",@progbits
; Kernel info:
; codeLenInByte = 9112
; NumSgprs: 45
; NumVgprs: 212
; ScratchSize: 0
; MemoryBound: 1
; FloatMode: 240
; IeeeMode: 1
; LDSByteSize: 0 bytes/workgroup (compile time only)
; SGPRBlocks: 5
; VGPRBlocks: 26
; NumSGPRsForWavesPerEU: 45
; NumVGPRsForWavesPerEU: 212
; Occupancy: 7
; WaveLimiterHint : 1
; COMPUTE_PGM_RSRC2:SCRATCH_EN: 0
; COMPUTE_PGM_RSRC2:USER_SGPR: 2
; COMPUTE_PGM_RSRC2:TRAP_HANDLER: 0
; COMPUTE_PGM_RSRC2:TGID_X_EN: 1
; COMPUTE_PGM_RSRC2:TGID_Y_EN: 0
; COMPUTE_PGM_RSRC2:TGID_Z_EN: 0
; COMPUTE_PGM_RSRC2:TIDIG_COMP_CNT: 0
	.text
	.p2alignl 7, 3214868480
	.fill 96, 4, 3214868480
	.type	__hip_cuid_1acc436d208a55e9,@object ; @__hip_cuid_1acc436d208a55e9
	.section	.bss,"aw",@nobits
	.globl	__hip_cuid_1acc436d208a55e9
__hip_cuid_1acc436d208a55e9:
	.byte	0                               ; 0x0
	.size	__hip_cuid_1acc436d208a55e9, 1

	.ident	"AMD clang version 19.0.0git (https://github.com/RadeonOpenCompute/llvm-project roc-6.4.0 25133 c7fe45cf4b819c5991fe208aaa96edf142730f1d)"
	.section	".note.GNU-stack","",@progbits
	.addrsig
	.addrsig_sym __hip_cuid_1acc436d208a55e9
	.amdgpu_metadata
---
amdhsa.kernels:
  - .args:
      - .actual_access:  read_only
        .address_space:  global
        .offset:         0
        .size:           8
        .value_kind:     global_buffer
      - .offset:         8
        .size:           8
        .value_kind:     by_value
      - .actual_access:  read_only
        .address_space:  global
        .offset:         16
        .size:           8
        .value_kind:     global_buffer
      - .actual_access:  read_only
        .address_space:  global
        .offset:         24
        .size:           8
        .value_kind:     global_buffer
      - .actual_access:  read_only
        .address_space:  global
        .offset:         32
        .size:           8
        .value_kind:     global_buffer
      - .offset:         40
        .size:           8
        .value_kind:     by_value
      - .actual_access:  read_only
        .address_space:  global
        .offset:         48
        .size:           8
        .value_kind:     global_buffer
      - .actual_access:  read_only
        .address_space:  global
        .offset:         56
        .size:           8
        .value_kind:     global_buffer
      - .offset:         64
        .size:           4
        .value_kind:     by_value
      - .actual_access:  read_only
        .address_space:  global
        .offset:         72
        .size:           8
        .value_kind:     global_buffer
      - .actual_access:  read_only
        .address_space:  global
        .offset:         80
        .size:           8
        .value_kind:     global_buffer
      - .actual_access:  read_only
        .address_space:  global
        .offset:         88
        .size:           8
        .value_kind:     global_buffer
      - .actual_access:  write_only
        .address_space:  global
        .offset:         96
        .size:           8
        .value_kind:     global_buffer
    .group_segment_fixed_size: 0
    .kernarg_segment_align: 8
    .kernarg_segment_size: 104
    .language:       OpenCL C
    .language_version:
      - 2
      - 0
    .max_flat_workgroup_size: 132
    .name:           fft_rtc_fwd_len726_factors_11_6_11_wgs_132_tpt_66_dp_op_CI_CI_sbrr_dirReg
    .private_segment_fixed_size: 0
    .sgpr_count:     45
    .sgpr_spill_count: 0
    .symbol:         fft_rtc_fwd_len726_factors_11_6_11_wgs_132_tpt_66_dp_op_CI_CI_sbrr_dirReg.kd
    .uniform_work_group_size: 1
    .uses_dynamic_stack: false
    .vgpr_count:     212
    .vgpr_spill_count: 0
    .wavefront_size: 32
    .workgroup_processor_mode: 1
amdhsa.target:   amdgcn-amd-amdhsa--gfx1201
amdhsa.version:
  - 1
  - 2
...

	.end_amdgpu_metadata
